;; amdgpu-corpus repo=ROCm/rocFFT kind=compiled arch=gfx1201 opt=O3
	.text
	.amdgcn_target "amdgcn-amd-amdhsa--gfx1201"
	.amdhsa_code_object_version 6
	.protected	bluestein_single_fwd_len120_dim1_sp_op_CI_CI ; -- Begin function bluestein_single_fwd_len120_dim1_sp_op_CI_CI
	.globl	bluestein_single_fwd_len120_dim1_sp_op_CI_CI
	.p2align	8
	.type	bluestein_single_fwd_len120_dim1_sp_op_CI_CI,@function
bluestein_single_fwd_len120_dim1_sp_op_CI_CI: ; @bluestein_single_fwd_len120_dim1_sp_op_CI_CI
; %bb.0:
	s_load_b128 s[12:15], s[0:1], 0x28
	v_mul_u32_u24_e32 v1, 0x1556, v0
	s_mov_b32 s2, exec_lo
	s_delay_alu instid0(VALU_DEP_1) | instskip(NEXT) | instid1(VALU_DEP_1)
	v_lshrrev_b32_e32 v1, 16, v1
	v_mad_co_u64_u32 v[40:41], null, ttmp9, 5, v[1:2]
	v_mov_b32_e32 v41, 0
	s_wait_kmcnt 0x0
	s_delay_alu instid0(VALU_DEP_1)
	v_cmpx_gt_u64_e64 s[12:13], v[40:41]
	s_cbranch_execz .LBB0_15
; %bb.1:
	s_clause 0x1
	s_load_b128 s[4:7], s[0:1], 0x18
	s_load_b64 s[12:13], s[0:1], 0x0
	v_mul_lo_u16 v1, v1, 12
	v_mul_hi_u32 v18, 0xcccccccd, v40
	s_delay_alu instid0(VALU_DEP_2) | instskip(NEXT) | instid1(VALU_DEP_2)
	v_sub_nc_u16 v16, v0, v1
	v_lshrrev_b32_e32 v18, 2, v18
	s_delay_alu instid0(VALU_DEP_1) | instskip(SKIP_2) | instid1(VALU_DEP_1)
	v_lshl_add_u32 v18, v18, 2, v18
	s_wait_kmcnt 0x0
	s_load_b128 s[8:11], s[4:5], 0x0
	v_sub_nc_u32_e32 v18, v40, v18
	s_delay_alu instid0(VALU_DEP_1)
	v_mul_u32_u24_e32 v18, 0x78, v18
	s_wait_kmcnt 0x0
	s_mul_u64 s[2:3], s[8:9], 40
	v_mad_co_u64_u32 v[0:1], null, s10, v40, 0
	s_lshl_b64 s[16:17], s[2:3], 3
	s_mov_b32 s2, 0
	s_delay_alu instid0(SALU_CYCLE_1) | instskip(SKIP_1) | instid1(VALU_DEP_1)
	v_dual_mov_b32 v24, s2 :: v_dual_and_b32 v73, 0xffff, v16
	s_mul_u64 s[4:5], s[8:9], 0xa0
	v_or_b32_e32 v74, 0x50, v73
	v_mad_co_u64_u32 v[2:3], null, s8, v73, 0
	v_lshlrev_b32_e32 v17, 3, v73
	s_clause 0x3
	global_load_b64 v[51:52], v17, s[12:13]
	global_load_b64 v[49:50], v17, s[12:13] offset:160
	global_load_b64 v[45:46], v17, s[12:13] offset:320
	global_load_b64 v[43:44], v17, s[12:13] offset:640
	v_mad_co_u64_u32 v[4:5], null, s8, v74, 0
	v_mad_co_u64_u32 v[6:7], null, s11, v40, v[1:2]
	v_lshlrev_b32_e32 v75, 3, v18
	s_load_b64 s[10:11], s[0:1], 0x38
	v_or_b32_e32 v69, 32, v73
	v_or_b32_e32 v70, 0x48, v73
	v_mov_b32_e32 v1, v5
	v_mad_co_u64_u32 v[7:8], null, s9, v73, v[3:4]
	v_or_b32_e32 v71, 0x70, v73
	s_delay_alu instid0(VALU_DEP_3) | instskip(SKIP_1) | instid1(VALU_DEP_4)
	v_mad_co_u64_u32 v[8:9], null, s9, v74, v[1:2]
	v_mov_b32_e32 v1, v6
	v_mov_b32_e32 v3, v7
	s_delay_alu instid0(VALU_DEP_2) | instskip(NEXT) | instid1(VALU_DEP_4)
	v_lshlrev_b64_e32 v[0:1], 3, v[0:1]
	v_mov_b32_e32 v5, v8
	s_delay_alu instid0(VALU_DEP_3) | instskip(NEXT) | instid1(VALU_DEP_3)
	v_lshlrev_b64_e32 v[6:7], 3, v[2:3]
	v_add_co_u32 v2, vcc_lo, s14, v0
	s_delay_alu instid0(VALU_DEP_4) | instskip(NEXT) | instid1(VALU_DEP_4)
	v_add_co_ci_u32_e32 v3, vcc_lo, s15, v1, vcc_lo
	v_lshlrev_b64_e32 v[0:1], 3, v[4:5]
	s_delay_alu instid0(VALU_DEP_3) | instskip(SKIP_1) | instid1(VALU_DEP_3)
	v_add_co_u32 v4, vcc_lo, v2, v6
	s_wait_alu 0xfffd
	v_add_co_ci_u32_e32 v5, vcc_lo, v3, v7, vcc_lo
	s_delay_alu instid0(VALU_DEP_3)
	v_add_co_u32 v0, vcc_lo, v2, v0
	s_wait_alu 0xfffd
	v_add_co_ci_u32_e32 v1, vcc_lo, v3, v1, vcc_lo
	s_clause 0x1
	global_load_b64 v[6:7], v[4:5], off
	global_load_b64 v[8:9], v[0:1], off
	v_add_co_u32 v4, vcc_lo, v4, s4
	s_wait_alu 0xfffd
	v_add_co_ci_u32_e32 v5, vcc_lo, s5, v5, vcc_lo
	s_delay_alu instid0(VALU_DEP_2) | instskip(SKIP_1) | instid1(VALU_DEP_2)
	v_add_co_u32 v0, vcc_lo, v4, s4
	s_wait_alu 0xfffd
	v_add_co_ci_u32_e32 v1, vcc_lo, s5, v5, vcc_lo
	global_load_b64 v[4:5], v[4:5], off
	v_add_co_u32 v10, vcc_lo, v0, s4
	global_load_b64 v[12:13], v[0:1], off
	s_wait_alu 0xfffd
	v_add_co_ci_u32_e32 v11, vcc_lo, s5, v1, vcc_lo
	v_add_co_u32 v0, vcc_lo, v10, s16
	s_wait_alu 0xfffd
	s_delay_alu instid0(VALU_DEP_2)
	v_add_co_ci_u32_e32 v1, vcc_lo, s17, v11, vcc_lo
	v_cmp_gt_u16_e32 vcc_lo, 8, v16
	s_wait_loadcnt 0x3
	v_mul_f32_e32 v16, v7, v52
	v_mul_f32_e32 v19, v6, v52
	s_wait_loadcnt 0x2
	v_mul_f32_e32 v18, v9, v44
	global_load_b64 v[53:54], v17, s[12:13] offset:480
	global_load_b64 v[10:11], v[10:11], off
	global_load_b64 v[47:48], v17, s[12:13] offset:800
	global_load_b64 v[14:15], v[0:1], off
	s_load_b128 s[4:7], s[6:7], 0x0
	v_add_co_u32 v41, s2, s12, v17
	v_mul_f32_e32 v20, v8, v44
	v_fmac_f32_e32 v16, v6, v51
	v_fmac_f32_e32 v18, v8, v43
	v_add_nc_u32_e32 v72, v17, v75
	s_wait_alu 0xf1ff
	v_add_co_ci_u32_e64 v42, null, s13, 0, s2
	s_wait_loadcnt 0x5
	v_mul_f32_e32 v6, v5, v50
	v_fma_f32 v17, v7, v51, -v19
	v_mul_f32_e32 v7, v4, v50
	s_wait_loadcnt 0x4
	v_mul_f32_e32 v8, v13, v46
	v_fma_f32 v19, v9, v43, -v20
	v_fmac_f32_e32 v6, v4, v49
	v_fma_f32 v7, v5, v49, -v7
	s_wait_loadcnt 0x2
	v_mul_f32_e32 v4, v11, v54
	v_mul_f32_e32 v5, v12, v46
	;; [unrolled: 1-line block ×3, first 2 shown]
	s_wait_loadcnt 0x0
	v_dual_mul_f32 v21, v14, v48 :: v_dual_fmac_f32 v8, v12, v45
	v_fmac_f32_e32 v4, v10, v53
	v_mul_f32_e32 v12, v15, v48
	v_fma_f32 v9, v13, v45, -v5
	v_fma_f32 v5, v11, v53, -v20
	;; [unrolled: 1-line block ×3, first 2 shown]
	s_delay_alu instid0(VALU_DEP_4)
	v_fmac_f32_e32 v12, v14, v47
	ds_store_2addr_b64 v72, v[16:17], v[6:7] offset1:20
	ds_store_2addr_b64 v72, v[8:9], v[4:5] offset0:40 offset1:60
	ds_store_2addr_b64 v72, v[18:19], v[12:13] offset0:80 offset1:100
	s_and_saveexec_b32 s3, vcc_lo
	s_cbranch_execz .LBB0_3
; %bb.2:
	v_mad_co_u64_u32 v[4:5], null, s8, v69, 0
	v_mad_co_u64_u32 v[6:7], null, s8, v70, 0
	;; [unrolled: 1-line block ×4, first 2 shown]
	s_mul_i32 s2, s9, 0xfffffd40
	s_delay_alu instid0(VALU_DEP_3) | instskip(NEXT) | instid1(VALU_DEP_4)
	v_mad_co_u64_u32 v[10:11], null, s9, v69, v[5:6]
	v_mov_b32_e32 v5, v7
	s_wait_alu 0xfffe
	s_sub_co_i32 s2, s2, s8
	s_delay_alu instid0(VALU_DEP_3)
	v_mov_b32_e32 v7, v9
	s_wait_alu 0xfffe
	v_add_nc_u32_e32 v1, s2, v1
	v_add_co_u32 v9, s2, v0, s16
	v_mad_co_u64_u32 v[11:12], null, s9, v70, v[5:6]
	v_mov_b32_e32 v5, v10
	s_wait_alu 0xf1ff
	v_add_co_ci_u32_e64 v10, s2, s17, v1, s2
	v_mad_co_u64_u32 v[12:13], null, s9, v71, v[7:8]
	s_delay_alu instid0(VALU_DEP_3)
	v_lshlrev_b64_e32 v[4:5], 3, v[4:5]
	global_load_b64 v[0:1], v[0:1], off
	global_load_b64 v[13:14], v[9:10], off
	v_mov_b32_e32 v7, v11
	v_add_co_u32 v4, s2, v2, v4
	s_wait_alu 0xf1ff
	v_add_co_ci_u32_e64 v5, s2, v3, v5, s2
	v_add_co_u32 v15, s2, v9, s16
	s_wait_alu 0xf1ff
	v_add_co_ci_u32_e64 v16, s2, s17, v10, s2
	s_clause 0x2
	global_load_b64 v[10:11], v[41:42], off offset:96
	global_load_b64 v[17:18], v[41:42], off offset:256
	global_load_b64 v[19:20], v[41:42], off offset:416
	global_load_b64 v[15:16], v[15:16], off
	global_load_b64 v[21:22], v[41:42], off offset:736
	v_mov_b32_e32 v9, v12
	s_delay_alu instid0(VALU_DEP_1)
	v_lshlrev_b64_e32 v[8:9], 3, v[8:9]
	s_wait_loadcnt 0x4
	v_mul_f32_e32 v27, v1, v11
	v_mul_f32_e32 v12, v0, v11
	s_wait_loadcnt 0x0
	v_mul_f32_e32 v11, v16, v22
	v_mul_f32_e32 v22, v15, v22
	v_dual_fmac_f32 v27, v0, v10 :: v_dual_mul_f32 v0, v14, v20
	v_mul_f32_e32 v20, v13, v20
	v_fma_f32 v28, v1, v10, -v12
	v_fmac_f32_e32 v11, v15, v21
	v_fma_f32 v12, v16, v21, -v22
	v_fmac_f32_e32 v0, v13, v19
	v_lshlrev_b64_e32 v[6:7], 3, v[6:7]
	v_fma_f32 v1, v14, v19, -v20
	s_delay_alu instid0(VALU_DEP_2) | instskip(SKIP_1) | instid1(VALU_DEP_3)
	v_add_co_u32 v6, s2, v2, v6
	s_wait_alu 0xf1ff
	v_add_co_ci_u32_e64 v7, s2, v3, v7, s2
	v_add_co_u32 v2, s2, v2, v8
	s_wait_alu 0xf1ff
	v_add_co_ci_u32_e64 v3, s2, v3, v9, s2
	s_clause 0x1
	global_load_b64 v[4:5], v[4:5], off
	global_load_b64 v[6:7], v[6:7], off
	s_clause 0x1
	global_load_b64 v[8:9], v[41:42], off offset:576
	global_load_b64 v[25:26], v[41:42], off offset:896
	global_load_b64 v[2:3], v[2:3], off
	s_wait_loadcnt 0x4
	v_mul_f32_e32 v13, v5, v18
	v_mul_f32_e32 v10, v4, v18
	s_wait_loadcnt 0x2
	v_mul_f32_e32 v16, v6, v9
	v_mul_f32_e32 v15, v7, v9
	s_wait_loadcnt 0x0
	v_mul_f32_e32 v9, v3, v26
	v_dual_mul_f32 v18, v2, v26 :: v_dual_fmac_f32 v13, v4, v17
	v_fma_f32 v14, v5, v17, -v10
	v_fmac_f32_e32 v15, v6, v8
	v_fma_f32 v16, v7, v8, -v16
	v_fmac_f32_e32 v9, v2, v25
	v_fma_f32 v10, v3, v25, -v18
	ds_store_2addr_b64 v72, v[27:28], v[13:14] offset0:12 offset1:32
	ds_store_2addr_b64 v72, v[0:1], v[15:16] offset0:52 offset1:72
	;; [unrolled: 1-line block ×3, first 2 shown]
.LBB0_3:
	s_wait_alu 0xfffe
	s_or_b32 exec_lo, exec_lo, s3
	global_wb scope:SCOPE_SE
	s_wait_dscnt 0x0
	s_wait_kmcnt 0x0
	s_barrier_signal -1
	s_barrier_wait -1
	global_inv scope:SCOPE_SE
	ds_load_2addr_b64 v[8:11], v72 offset1:20
	ds_load_2addr_b64 v[20:23], v72 offset0:40 offset1:60
	ds_load_2addr_b64 v[16:19], v72 offset0:80 offset1:100
	s_load_b64 s[2:3], s[0:1], 0x8
                                        ; implicit-def: $vgpr2
                                        ; implicit-def: $vgpr6
                                        ; implicit-def: $vgpr12
	s_and_saveexec_b32 s0, vcc_lo
	s_cbranch_execz .LBB0_5
; %bb.4:
	ds_load_2addr_b64 v[0:3], v72 offset0:12 offset1:32
	ds_load_2addr_b64 v[4:7], v72 offset0:52 offset1:72
	;; [unrolled: 1-line block ×3, first 2 shown]
.LBB0_5:
	s_wait_alu 0xfffe
	s_or_b32 exec_lo, exec_lo, s0
	s_wait_dscnt 0x0
	v_dual_add_f32 v25, v20, v16 :: v_dual_add_f32 v28, v22, v18
	v_dual_add_f32 v26, v8, v20 :: v_dual_sub_f32 v27, v21, v17
	v_add_co_u32 v37, null, v73, 12
	s_delay_alu instid0(VALU_DEP_3)
	v_fma_f32 v8, -0.5, v25, v8
	v_add_f32_e32 v25, v21, v17
	v_add_f32_e32 v21, v9, v21
	;; [unrolled: 1-line block ×3, first 2 shown]
	v_sub_f32_e32 v16, v20, v16
	v_fmamk_f32 v32, v27, 0x3f5db3d7, v8
	v_fmac_f32_e32 v8, 0xbf5db3d7, v27
	v_fma_f32 v9, -0.5, v25, v9
	v_add_f32_e32 v25, v23, v19
	v_fma_f32 v20, -0.5, v28, v10
	v_add_f32_e32 v10, v10, v22
	v_sub_f32_e32 v26, v23, v19
	v_add_f32_e32 v23, v11, v23
	v_fmac_f32_e32 v11, -0.5, v25
	v_sub_f32_e32 v25, v22, v18
	s_delay_alu instid0(VALU_DEP_4) | instskip(SKIP_1) | instid1(VALU_DEP_3)
	v_dual_add_f32 v17, v21, v17 :: v_dual_fmamk_f32 v22, v26, 0x3f5db3d7, v20
	v_dual_fmac_f32 v20, 0xbf5db3d7, v26 :: v_dual_fmamk_f32 v21, v16, 0xbf5db3d7, v9
	v_dual_add_f32 v10, v10, v18 :: v_dual_fmamk_f32 v27, v25, 0xbf5db3d7, v11
	v_fmac_f32_e32 v9, 0x3f5db3d7, v16
	s_delay_alu instid0(VALU_DEP_3)
	v_mul_f32_e32 v18, -0.5, v20
	v_mul_u32_u24_e32 v77, 6, v37
	global_wb scope:SCOPE_SE
	v_dual_mul_f32 v16, 0x3f5db3d7, v27 :: v_dual_fmac_f32 v11, 0x3f5db3d7, v25
	v_add_f32_e32 v25, v31, v10
	s_wait_kmcnt 0x0
	s_barrier_signal -1
	s_barrier_wait -1
	v_fmac_f32_e32 v16, 0.5, v22
	v_mul_f32_e32 v36, -0.5, v11
	v_add_f32_e32 v19, v23, v19
	v_dual_fmac_f32 v18, 0x3f5db3d7, v11 :: v_dual_add_f32 v11, v12, v4
	s_delay_alu instid0(VALU_DEP_4) | instskip(NEXT) | instid1(VALU_DEP_4)
	v_sub_f32_e32 v33, v32, v16
	v_dual_fmac_f32 v36, 0xbf5db3d7, v20 :: v_dual_mul_f32 v23, 0xbf5db3d7, v22
	s_delay_alu instid0(VALU_DEP_3) | instskip(NEXT) | instid1(VALU_DEP_2)
	v_dual_add_f32 v26, v17, v19 :: v_dual_add_f32 v29, v8, v18
	v_dual_sub_f32 v35, v8, v18 :: v_dual_add_f32 v30, v9, v36
	s_delay_alu instid0(VALU_DEP_3) | instskip(SKIP_3) | instid1(VALU_DEP_4)
	v_dual_sub_f32 v36, v9, v36 :: v_dual_fmac_f32 v23, 0.5, v27
	v_add_f32_e32 v27, v32, v16
	v_dual_sub_f32 v31, v31, v10 :: v_dual_sub_f32 v8, v5, v13
	v_fma_f32 v16, -0.5, v11, v0
	v_sub_f32_e32 v34, v21, v23
	v_dual_add_f32 v10, v6, v14 :: v_dual_add_f32 v11, v7, v15
	v_sub_f32_e32 v20, v6, v14
	v_sub_f32_e32 v32, v17, v19
	v_add_f32_e32 v9, v13, v5
	s_delay_alu instid0(VALU_DEP_4)
	v_fma_f32 v10, -0.5, v10, v2
	v_fma_f32 v11, -0.5, v11, v3
	v_sub_f32_e32 v19, v7, v15
	v_fmamk_f32 v17, v8, 0x3f5db3d7, v16
	v_fmac_f32_e32 v16, 0xbf5db3d7, v8
	v_fma_f32 v18, -0.5, v9, v1
	v_fmamk_f32 v8, v20, 0xbf5db3d7, v11
	v_dual_sub_f32 v9, v4, v12 :: v_dual_fmamk_f32 v38, v19, 0x3f5db3d7, v10
	v_dual_fmac_f32 v11, 0x3f5db3d7, v20 :: v_dual_add_f32 v28, v21, v23
	s_delay_alu instid0(VALU_DEP_3) | instskip(SKIP_2) | instid1(VALU_DEP_1)
	v_mul_f32_e32 v20, 0x3f5db3d7, v8
	global_inv scope:SCOPE_SE
	v_mul_f32_e32 v22, 0xbf5db3d7, v38
	v_fmac_f32_e32 v22, 0.5, v8
	v_fmac_f32_e32 v10, 0xbf5db3d7, v19
	v_fmamk_f32 v19, v9, 0xbf5db3d7, v18
	v_fmac_f32_e32 v18, 0x3f5db3d7, v9
	v_mul_lo_u16 v9, v73, 6
	v_dual_mul_f32 v23, -0.5, v11 :: v_dual_fmac_f32 v20, 0.5, v38
	s_delay_alu instid0(VALU_DEP_2) | instskip(NEXT) | instid1(VALU_DEP_2)
	v_dual_sub_f32 v9, v19, v22 :: v_dual_and_b32 v38, 0xffff, v9
	v_dual_mul_f32 v21, -0.5, v10 :: v_dual_sub_f32 v8, v17, v20
	s_delay_alu instid0(VALU_DEP_3) | instskip(NEXT) | instid1(VALU_DEP_2)
	v_fmac_f32_e32 v23, 0xbf5db3d7, v10
	v_fmac_f32_e32 v21, 0x3f5db3d7, v11
	s_delay_alu instid0(VALU_DEP_2)
	v_sub_f32_e32 v11, v18, v23
	v_lshl_add_u32 v78, v38, 3, v75
	ds_store_b128 v78, v[25:28]
	ds_store_b128 v78, v[29:32] offset:16
	ds_store_b128 v78, v[33:36] offset:32
	v_sub_f32_e32 v10, v16, v21
	s_and_saveexec_b32 s0, vcc_lo
	s_cbranch_execz .LBB0_7
; %bb.6:
	v_dual_add_f32 v1, v5, v1 :: v_dual_add_f32 v0, v4, v0
	v_dual_add_f32 v3, v3, v7 :: v_dual_add_f32 v2, v2, v6
	v_add_f32_e32 v6, v17, v20
	s_delay_alu instid0(VALU_DEP_3) | instskip(NEXT) | instid1(VALU_DEP_4)
	v_add_f32_e32 v4, v13, v1
	v_dual_add_f32 v0, v12, v0 :: v_dual_add_f32 v1, v18, v23
	s_delay_alu instid0(VALU_DEP_4) | instskip(SKIP_1) | instid1(VALU_DEP_2)
	v_dual_add_f32 v5, v3, v15 :: v_dual_add_f32 v12, v2, v14
	v_add_f32_e32 v7, v19, v22
	v_sub_f32_e32 v3, v4, v5
	s_delay_alu instid0(VALU_DEP_3)
	v_sub_f32_e32 v2, v0, v12
	v_add_f32_e32 v5, v5, v4
	v_add_f32_e32 v4, v12, v0
	;; [unrolled: 1-line block ×3, first 2 shown]
	v_lshl_add_u32 v12, v77, 3, v75
	ds_store_b128 v12, v[4:7]
	ds_store_b128 v12, v[0:3] offset:16
	ds_store_b128 v12, v[8:11] offset:32
.LBB0_7:
	s_wait_alu 0xfffe
	s_or_b32 exec_lo, exec_lo, s0
	v_add_nc_u32_e32 v0, -6, v73
	v_cmp_gt_u16_e64 s0, 6, v73
	global_wb scope:SCOPE_SE
	s_wait_dscnt 0x0
	s_barrier_signal -1
	s_barrier_wait -1
	global_inv scope:SCOPE_SE
	s_wait_alu 0xf1ff
	v_cndmask_b32_e64 v39, v0, v73, s0
	v_or_b32_e32 v25, 48, v73
	s_delay_alu instid0(VALU_DEP_2) | instskip(SKIP_1) | instid1(VALU_DEP_2)
	v_mul_i32_i24_e32 v0, 0x48, v39
	v_mul_hi_i32_i24_e32 v1, 0x48, v39
	v_add_co_u32 v20, s0, s2, v0
	s_wait_alu 0xf1ff
	s_delay_alu instid0(VALU_DEP_2)
	v_add_co_ci_u32_e64 v21, s0, s3, v1, s0
	v_cmp_lt_u16_e64 s0, 5, v73
	s_clause 0x4
	global_load_b128 v[16:19], v[20:21], off
	global_load_b128 v[12:15], v[20:21], off offset:16
	global_load_b128 v[4:7], v[20:21], off offset:32
	;; [unrolled: 1-line block ×3, first 2 shown]
	global_load_b64 v[55:56], v[20:21], off offset:64
	ds_load_2addr_b64 v[20:23], v72 offset1:12
	ds_load_2addr_b64 v[27:30], v72 offset0:24 offset1:36
	v_mov_b32_e32 v26, v24
	s_wait_alu 0xf1ff
	v_cndmask_b32_e64 v24, 0, 60, s0
	v_add_co_u32 v57, s0, v73, -12
	s_wait_alu 0xf1ff
	v_add_co_ci_u32_e64 v58, null, 0, -1, s0
	s_delay_alu instid0(VALU_DEP_3)
	v_add_nc_u32_e32 v24, v39, v24
	ds_load_2addr_b64 v[31:34], v72 offset0:48 offset1:60
	ds_load_2addr_b64 v[35:38], v72 offset0:72 offset1:84
	s_wait_loadcnt_dscnt 0x403
	v_mul_f32_e32 v61, v22, v17
	v_mul_f32_e32 v39, v23, v17
	v_cmp_gt_u64_e64 s0, 60, v[25:26]
	s_wait_loadcnt_dscnt 0x302
	v_dual_mul_f32 v62, v28, v19 :: v_dual_mul_f32 v65, v29, v13
	s_wait_loadcnt_dscnt 0x201
	v_dual_mul_f32 v66, v32, v15 :: v_dual_mul_f32 v79, v34, v5
	s_wait_dscnt 0x0
	v_dual_mul_f32 v81, v36, v7 :: v_dual_lshlrev_b32 v26, 3, v73
	s_wait_alu 0xf1ff
	v_cndmask_b32_e64 v67, v57, v25, s0
	v_cndmask_b32_e64 v68, v58, 0, s0
	ds_load_2addr_b64 v[57:60], v72 offset0:96 offset1:108
	v_lshl_add_u32 v76, v24, 3, v75
	v_dual_mul_f32 v63, v27, v19 :: v_dual_mul_f32 v64, v30, v13
	v_lshlrev_b64_e32 v[24:25], 3, v[67:68]
	s_wait_loadcnt 0x1
	v_dual_mul_f32 v68, v31, v15 :: v_dual_mul_f32 v83, v38, v1
	v_mul_f32_e32 v80, v33, v5
	v_dual_mul_f32 v82, v35, v7 :: v_dual_fmac_f32 v63, v28, v18
	v_fma_f32 v39, v22, v16, -v39
	v_fma_f32 v22, v27, v18, -v62
	;; [unrolled: 1-line block ×3, first 2 shown]
	v_dual_mul_f32 v84, v37, v1 :: v_dual_fmac_f32 v61, v23, v16
	v_dual_fmac_f32 v65, v30, v12 :: v_dual_fmac_f32 v68, v32, v14
	v_fma_f32 v28, v33, v4, -v79
	v_fma_f32 v30, v37, v0, -v83
	v_sub_f32_e32 v37, v22, v27
	s_wait_dscnt 0x0
	v_mul_f32_e32 v85, v58, v3
	s_wait_loadcnt 0x0
	v_dual_mul_f32 v86, v57, v3 :: v_dual_mul_f32 v87, v60, v56
	v_dual_mul_f32 v88, v59, v56 :: v_dual_add_f32 v33, v20, v22
	v_fma_f32 v23, v29, v12, -v64
	v_fma_f32 v29, v35, v6, -v81
	;; [unrolled: 1-line block ×3, first 2 shown]
	v_fmac_f32_e32 v82, v36, v6
	v_fmac_f32_e32 v86, v58, v2
	v_fma_f32 v32, v59, v55, -v87
	v_fmac_f32_e32 v80, v34, v4
	v_dual_fmac_f32 v84, v38, v0 :: v_dual_sub_f32 v59, v29, v31
	s_delay_alu instid0(VALU_DEP_4)
	v_sub_f32_e32 v35, v63, v86
	v_dual_sub_f32 v38, v31, v29 :: v_dual_add_f32 v87, v28, v30
	v_add_f32_e32 v57, v22, v31
	v_fmac_f32_e32 v88, v60, v55
	v_dual_sub_f32 v36, v68, v82 :: v_dual_add_f32 v85, v39, v23
	v_dual_add_f32 v60, v21, v63 :: v_dual_add_f32 v81, v63, v86
	v_dual_add_f32 v62, v68, v82 :: v_dual_sub_f32 v91, v23, v28
	v_dual_sub_f32 v64, v27, v29 :: v_dual_sub_f32 v95, v30, v32
	v_dual_sub_f32 v66, v63, v68 :: v_dual_sub_f32 v63, v68, v63
	v_dual_add_f32 v34, v27, v29 :: v_dual_sub_f32 v83, v82, v86
	v_sub_f32_e32 v79, v86, v82
	v_dual_sub_f32 v58, v27, v22 :: v_dual_sub_f32 v89, v65, v88
	v_dual_sub_f32 v22, v22, v31 :: v_dual_add_f32 v93, v23, v32
	v_dual_sub_f32 v94, v28, v23 :: v_dual_sub_f32 v99, v65, v80
	v_dual_add_f32 v96, v61, v65 :: v_dual_add_f32 v97, v80, v84
	v_dual_sub_f32 v90, v80, v84 :: v_dual_add_f32 v27, v33, v27
	v_dual_sub_f32 v92, v32, v30 :: v_dual_sub_f32 v23, v23, v32
	v_dual_sub_f32 v98, v28, v30 :: v_dual_add_f32 v101, v65, v88
	v_dual_sub_f32 v100, v88, v84 :: v_dual_add_f32 v33, v37, v38
	v_fma_f32 v103, -0.5, v34, v20
	v_fma_f32 v38, -0.5, v57, v20
	v_dual_add_f32 v20, v58, v59 :: v_dual_add_f32 v59, v91, v92
	v_add_f32_e32 v34, v60, v68
	v_fma_f32 v60, -0.5, v62, v21
	v_fma_f32 v58, -0.5, v81, v21
	v_dual_add_f32 v21, v63, v83 :: v_dual_add_f32 v28, v85, v28
	v_fma_f32 v57, -0.5, v87, v39
	v_dual_fmac_f32 v39, -0.5, v93 :: v_dual_add_f32 v62, v94, v95
	v_add_f32_e32 v63, v96, v80
	v_sub_f32_e32 v65, v80, v65
	v_dual_sub_f32 v102, v84, v88 :: v_dual_add_f32 v37, v66, v79
	v_fma_f32 v66, -0.5, v97, v61
	v_dual_add_f32 v68, v99, v100 :: v_dual_fmac_f32 v61, -0.5, v101
	v_add_f32_e32 v27, v27, v29
	v_fmamk_f32 v79, v35, 0x3f737871, v103
	v_fmac_f32_e32 v103, 0xbf737871, v35
	v_dual_add_f32 v29, v34, v82 :: v_dual_fmamk_f32 v82, v64, 0x3f737871, v58
	v_dual_fmamk_f32 v81, v22, 0xbf737871, v60 :: v_dual_add_f32 v28, v28, v30
	v_fmac_f32_e32 v60, 0x3f737871, v22
	v_fmac_f32_e32 v58, 0xbf737871, v64
	v_dual_fmamk_f32 v30, v89, 0x3f737871, v57 :: v_dual_add_f32 v63, v63, v84
	v_dual_fmamk_f32 v34, v90, 0xbf737871, v39 :: v_dual_fmamk_f32 v83, v23, 0xbf737871, v66
	v_dual_add_f32 v65, v65, v102 :: v_dual_fmamk_f32 v80, v36, 0xbf737871, v38
	v_fmac_f32_e32 v38, 0x3f737871, v36
	v_fmac_f32_e32 v57, 0xbf737871, v89
	v_dual_fmamk_f32 v84, v98, 0x3f737871, v61 :: v_dual_add_f32 v27, v27, v31
	v_fmac_f32_e32 v61, 0xbf737871, v98
	v_dual_add_f32 v29, v29, v86 :: v_dual_fmac_f32 v60, 0x3f167918, v64
	v_dual_fmac_f32 v81, 0xbf167918, v64 :: v_dual_fmac_f32 v82, 0xbf167918, v22
	v_fmac_f32_e32 v58, 0x3f167918, v22
	v_add_f32_e32 v22, v28, v32
	v_dual_add_f32 v28, v63, v88 :: v_dual_fmac_f32 v61, 0x3f167918, v23
	v_fmac_f32_e32 v34, 0x3f167918, v89
	v_dual_fmac_f32 v39, 0x3f737871, v90 :: v_dual_fmac_f32 v66, 0x3f737871, v23
	v_dual_fmac_f32 v79, 0x3f167918, v36 :: v_dual_fmac_f32 v80, 0x3f167918, v35
	;; [unrolled: 1-line block ×3, first 2 shown]
	s_delay_alu instid0(VALU_DEP_4)
	v_dual_sub_f32 v23, v29, v28 :: v_dual_fmac_f32 v34, 0x3e9e377a, v62
	v_fmac_f32_e32 v61, 0x3e9e377a, v65
	v_dual_fmac_f32 v103, 0xbf167918, v36 :: v_dual_fmac_f32 v38, 0xbf167918, v35
	v_fmac_f32_e32 v39, 0xbf167918, v89
	v_dual_fmac_f32 v79, 0x3e9e377a, v33 :: v_dual_fmac_f32 v80, 0x3e9e377a, v20
	v_fmac_f32_e32 v84, 0x3e9e377a, v65
	v_mul_f32_e32 v63, 0xbf737871, v34
	v_dual_fmac_f32 v103, 0x3e9e377a, v33 :: v_dual_fmac_f32 v38, 0x3e9e377a, v20
	v_add_f32_e32 v20, v27, v22
	v_dual_fmac_f32 v82, 0x3e9e377a, v21 :: v_dual_fmac_f32 v39, 0x3e9e377a, v62
	s_delay_alu instid0(VALU_DEP_4) | instskip(SKIP_4) | instid1(VALU_DEP_4)
	v_fmac_f32_e32 v63, 0x3e9e377a, v84
	v_fmac_f32_e32 v83, 0xbf167918, v98
	;; [unrolled: 1-line block ×4, first 2 shown]
	v_dual_fmac_f32 v60, 0x3e9e377a, v37 :: v_dual_fmac_f32 v57, 0x3e9e377a, v59
	v_fmac_f32_e32 v83, 0x3e9e377a, v68
	v_dual_fmac_f32 v66, 0x3f167918, v98 :: v_dual_add_f32 v21, v29, v28
	v_dual_fmac_f32 v81, 0x3e9e377a, v37 :: v_dual_fmac_f32 v30, 0x3e9e377a, v59
	s_delay_alu instid0(VALU_DEP_3) | instskip(NEXT) | instid1(VALU_DEP_3)
	v_mul_f32_e32 v35, 0x3f167918, v83
	v_fmac_f32_e32 v66, 0x3e9e377a, v68
	v_dual_sub_f32 v22, v27, v22 :: v_dual_mul_f32 v29, 0x3e9e377a, v61
	v_mul_f32_e32 v27, 0x3e9e377a, v39
	s_delay_alu instid0(VALU_DEP_3) | instskip(SKIP_1) | instid1(VALU_DEP_4)
	v_dual_mul_f32 v28, 0x3f4f1bbd, v57 :: v_dual_mul_f32 v31, 0x3f4f1bbd, v66
	v_fmac_f32_e32 v35, 0x3f4f1bbd, v30
	v_fma_f32 v39, 0xbf737871, v39, -v29
	s_delay_alu instid0(VALU_DEP_4) | instskip(NEXT) | instid1(VALU_DEP_4)
	v_fma_f32 v59, 0x3f737871, v61, -v27
	v_fma_f32 v61, 0x3f167918, v66, -v28
	;; [unrolled: 1-line block ×3, first 2 shown]
	v_dual_add_f32 v27, v79, v35 :: v_dual_mul_f32 v36, 0x3f737871, v84
	s_delay_alu instid0(VALU_DEP_4) | instskip(NEXT) | instid1(VALU_DEP_4)
	v_add_f32_e32 v31, v38, v59
	v_dual_add_f32 v33, v103, v61 :: v_dual_add_f32 v32, v58, v39
	s_delay_alu instid0(VALU_DEP_3)
	v_dual_sub_f32 v57, v38, v59 :: v_dual_fmac_f32 v36, 0x3e9e377a, v34
	v_mul_f32_e32 v62, 0xbf167918, v30
	v_sub_f32_e32 v58, v58, v39
	global_wb scope:SCOPE_SE
	s_barrier_signal -1
	v_dual_add_f32 v29, v80, v36 :: v_dual_fmac_f32 v62, 0x3f4f1bbd, v83
	v_dual_add_f32 v34, v60, v64 :: v_dual_sub_f32 v35, v79, v35
	v_sub_f32_e32 v37, v80, v36
	v_sub_f32_e32 v60, v60, v64
	s_delay_alu instid0(VALU_DEP_4)
	v_sub_f32_e32 v36, v81, v62
	v_add_f32_e32 v28, v81, v62
	v_dual_add_f32 v30, v82, v63 :: v_dual_sub_f32 v59, v103, v61
	v_sub_f32_e32 v38, v82, v63
	s_barrier_wait -1
	global_inv scope:SCOPE_SE
	ds_store_2addr_b64 v76, v[20:21], v[27:28] offset1:6
	ds_store_2addr_b64 v76, v[29:30], v[31:32] offset0:12 offset1:18
	ds_store_2addr_b64 v76, v[33:34], v[22:23] offset0:24 offset1:30
	;; [unrolled: 1-line block ×4, first 2 shown]
	v_add_co_u32 v20, s0, s2, v24
	global_wb scope:SCOPE_SE
	s_wait_dscnt 0x0
	s_barrier_signal -1
	s_barrier_wait -1
	global_inv scope:SCOPE_SE
	s_clause 0x1
	global_load_b64 v[65:66], v26, s[2:3] offset:432
	global_load_b64 v[63:64], v26, s[2:3] offset:528
	s_wait_alu 0xf1ff
	v_add_co_ci_u32_e64 v21, s0, s3, v25, s0
	s_clause 0x2
	global_load_b64 v[61:62], v26, s[2:3] offset:624
	global_load_b64 v[59:60], v26, s[2:3] offset:720
	global_load_b64 v[57:58], v[20:21], off offset:432
	ds_load_2addr_b64 v[22:25], v72 offset0:48 offset1:60
	ds_load_2addr_b64 v[27:30], v72 offset0:72 offset1:84
	;; [unrolled: 1-line block ×3, first 2 shown]
	ds_load_2addr_b64 v[35:38], v72 offset1:12
	ds_load_2addr_b64 v[80:83], v72 offset0:24 offset1:36
	v_lshl_add_u32 v79, v67, 3, v75
	s_add_nc_u64 s[0:1], s[12:13], 0x3c0
	s_wait_loadcnt_dscnt 0x303
	v_dual_mul_f32 v20, v25, v66 :: v_dual_mul_f32 v39, v28, v64
	v_mul_f32_e32 v21, v24, v66
	s_wait_loadcnt 0x2
	v_dual_mul_f32 v67, v27, v64 :: v_dual_mul_f32 v68, v30, v62
	s_wait_loadcnt_dscnt 0x102
	v_dual_mul_f32 v84, v29, v62 :: v_dual_mul_f32 v85, v32, v60
	s_wait_loadcnt 0x0
	v_dual_mul_f32 v86, v31, v60 :: v_dual_mul_f32 v87, v34, v58
	v_dual_mul_f32 v88, v33, v58 :: v_dual_fmac_f32 v67, v28, v63
	v_fma_f32 v20, v24, v65, -v20
	s_delay_alu instid0(VALU_DEP_3)
	v_dual_fmac_f32 v21, v25, v65 :: v_dual_fmac_f32 v86, v32, v59
	v_fma_f32 v24, v27, v63, -v39
	v_fma_f32 v25, v29, v61, -v68
	s_wait_dscnt 0x1
	v_dual_fmac_f32 v84, v30, v61 :: v_dual_sub_f32 v27, v35, v20
	v_fma_f32 v39, v31, v59, -v85
	v_fma_f32 v33, v33, v57, -v87
	v_dual_fmac_f32 v88, v34, v57 :: v_dual_sub_f32 v29, v37, v24
	s_wait_dscnt 0x0
	v_dual_sub_f32 v28, v36, v21 :: v_dual_sub_f32 v21, v83, v86
	v_dual_sub_f32 v30, v38, v67 :: v_dual_sub_f32 v31, v80, v25
	v_sub_f32_e32 v32, v81, v84
	v_dual_sub_f32 v20, v82, v39 :: v_dual_sub_f32 v25, v23, v88
	v_sub_f32_e32 v24, v22, v33
	v_fma_f32 v33, v35, 2.0, -v27
	v_fma_f32 v34, v36, 2.0, -v28
	;; [unrolled: 1-line block ×10, first 2 shown]
	ds_store_b64 v72, v[27:28] offset:480
	ds_store_2addr_b64 v72, v[33:34], v[35:36] offset1:12
	ds_store_b64 v72, v[29:30] offset:576
	ds_store_2addr_b64 v72, v[37:38], v[67:68] offset0:24 offset1:36
	ds_store_2addr_b64 v72, v[31:32], v[20:21] offset0:84 offset1:96
	ds_store_2addr_b64 v79, v[22:23], v[24:25] offset1:60
	global_wb scope:SCOPE_SE
	s_wait_dscnt 0x0
	s_barrier_signal -1
	s_barrier_wait -1
	global_inv scope:SCOPE_SE
	s_clause 0x5
	global_load_b64 v[80:81], v[41:42], off offset:960
	global_load_b64 v[82:83], v26, s[0:1] offset:160
	global_load_b64 v[84:85], v26, s[0:1] offset:320
	;; [unrolled: 1-line block ×5, first 2 shown]
	ds_load_2addr_b64 v[27:30], v72 offset1:20
	ds_load_2addr_b64 v[31:34], v72 offset0:40 offset1:60
	ds_load_2addr_b64 v[35:38], v72 offset0:80 offset1:100
	s_wait_loadcnt_dscnt 0x502
	v_mul_f32_e32 v39, v28, v81
	s_wait_loadcnt 0x4
	v_dual_mul_f32 v92, v27, v81 :: v_dual_mul_f32 v93, v30, v83
	s_wait_loadcnt_dscnt 0x301
	v_dual_mul_f32 v81, v29, v83 :: v_dual_mul_f32 v94, v32, v85
	s_wait_loadcnt 0x2
	v_mul_f32_e32 v95, v34, v87
	v_dual_mul_f32 v83, v31, v85 :: v_dual_fmac_f32 v92, v28, v80
	s_wait_loadcnt_dscnt 0x100
	v_dual_mul_f32 v85, v33, v87 :: v_dual_mul_f32 v96, v36, v89
	v_mul_f32_e32 v87, v35, v89
	s_wait_loadcnt 0x0
	v_mul_f32_e32 v97, v38, v91
	v_mul_f32_e32 v89, v37, v91
	v_fma_f32 v91, v27, v80, -v39
	v_fma_f32 v80, v29, v82, -v93
	v_fmac_f32_e32 v81, v30, v82
	v_fma_f32 v82, v31, v84, -v94
	v_fmac_f32_e32 v83, v32, v84
	;; [unrolled: 2-line block ×5, first 2 shown]
	ds_store_2addr_b64 v72, v[91:92], v[80:81] offset1:20
	ds_store_2addr_b64 v72, v[82:83], v[84:85] offset0:40 offset1:60
	ds_store_2addr_b64 v72, v[86:87], v[88:89] offset0:80 offset1:100
	s_and_saveexec_b32 s2, vcc_lo
	s_cbranch_execz .LBB0_9
; %bb.8:
	s_wait_alu 0xfffe
	v_add_co_u32 v26, s0, s0, v26
	s_wait_alu 0xf1ff
	v_add_co_ci_u32_e64 v27, null, s1, 0, s0
	s_clause 0x5
	global_load_b64 v[38:39], v[26:27], off offset:96
	global_load_b64 v[80:81], v[26:27], off offset:256
	;; [unrolled: 1-line block ×6, first 2 shown]
	ds_load_2addr_b64 v[26:29], v72 offset0:12 offset1:32
	ds_load_2addr_b64 v[30:33], v72 offset0:52 offset1:72
	;; [unrolled: 1-line block ×3, first 2 shown]
	s_wait_loadcnt_dscnt 0x402
	v_dual_mul_f32 v91, v27, v39 :: v_dual_mul_f32 v92, v29, v81
	v_dual_mul_f32 v90, v26, v39 :: v_dual_mul_f32 v39, v28, v81
	s_wait_loadcnt_dscnt 0x201
	v_dual_mul_f32 v93, v31, v83 :: v_dual_mul_f32 v94, v33, v85
	s_wait_loadcnt_dscnt 0x0
	v_dual_mul_f32 v81, v30, v83 :: v_dual_mul_f32 v96, v37, v89
	v_dual_mul_f32 v83, v32, v85 :: v_dual_fmac_f32 v90, v27, v38
	v_mul_f32_e32 v95, v35, v87
	v_mul_f32_e32 v85, v34, v87
	v_mul_f32_e32 v87, v36, v89
	v_fma_f32 v89, v26, v38, -v91
	v_fma_f32 v38, v28, v80, -v92
	v_fmac_f32_e32 v39, v29, v80
	v_fma_f32 v80, v30, v82, -v93
	v_fmac_f32_e32 v81, v31, v82
	;; [unrolled: 2-line block ×5, first 2 shown]
	ds_store_2addr_b64 v72, v[89:90], v[38:39] offset0:12 offset1:32
	ds_store_2addr_b64 v72, v[80:81], v[82:83] offset0:52 offset1:72
	;; [unrolled: 1-line block ×3, first 2 shown]
.LBB0_9:
	s_wait_alu 0xfffe
	s_or_b32 exec_lo, exec_lo, s2
	global_wb scope:SCOPE_SE
	s_wait_dscnt 0x0
	s_barrier_signal -1
	s_barrier_wait -1
	global_inv scope:SCOPE_SE
	ds_load_2addr_b64 v[28:31], v72 offset1:20
	ds_load_2addr_b64 v[36:39], v72 offset0:40 offset1:60
	ds_load_2addr_b64 v[32:35], v72 offset0:80 offset1:100
	s_and_saveexec_b32 s0, vcc_lo
	s_cbranch_execz .LBB0_11
; %bb.10:
	v_lshl_add_u32 v8, v73, 3, v75
	ds_load_2addr_b64 v[24:27], v8 offset0:72 offset1:92
	ds_load_2addr_b64 v[20:23], v8 offset0:32 offset1:52
	ds_load_b64 v[67:68], v72 offset:96
	ds_load_b64 v[10:11], v8 offset:896
	s_wait_dscnt 0x3
	v_dual_mov_b32 v8, v26 :: v_dual_mov_b32 v9, v27
.LBB0_11:
	s_wait_alu 0xfffe
	s_or_b32 exec_lo, exec_lo, s0
	s_wait_dscnt 0x0
	v_add_f32_e32 v80, v36, v32
	v_dual_add_f32 v82, v37, v33 :: v_dual_add_nc_u32 v27, 0xc0, v72
	v_add_f32_e32 v81, v28, v36
	global_wb scope:SCOPE_SE
	v_fma_f32 v80, -0.5, v80, v28
	v_sub_f32_e32 v28, v37, v33
	v_add_f32_e32 v37, v29, v37
	v_add_f32_e32 v81, v81, v32
	v_fma_f32 v82, -0.5, v82, v29
	v_sub_f32_e32 v29, v36, v32
	v_fmamk_f32 v36, v28, 0xbf5db3d7, v80
	v_fmac_f32_e32 v80, 0x3f5db3d7, v28
	v_add_f32_e32 v28, v39, v35
	v_dual_add_f32 v37, v37, v33 :: v_dual_add_nc_u32 v26, 0x120, v72
	v_dual_fmamk_f32 v83, v29, 0x3f5db3d7, v82 :: v_dual_add_f32 v32, v38, v34
	v_add_f32_e32 v33, v31, v39
	s_delay_alu instid0(VALU_DEP_4) | instskip(SKIP_1) | instid1(VALU_DEP_4)
	v_dual_fmac_f32 v31, -0.5, v28 :: v_dual_sub_f32 v28, v38, v34
	v_add_f32_e32 v38, v30, v38
	v_fma_f32 v30, -0.5, v32, v30
	v_sub_f32_e32 v32, v39, v35
	v_dual_fmac_f32 v82, 0xbf5db3d7, v29 :: v_dual_add_f32 v35, v33, v35
	v_fmamk_f32 v29, v28, 0x3f5db3d7, v31
	v_dual_fmac_f32 v31, 0xbf5db3d7, v28 :: v_dual_add_f32 v34, v38, v34
	s_delay_alu instid0(VALU_DEP_4) | instskip(SKIP_1) | instid1(VALU_DEP_3)
	v_fmamk_f32 v38, v32, 0xbf5db3d7, v30
	s_barrier_signal -1
	v_mul_f32_e32 v85, 0.5, v29
	v_mul_f32_e32 v39, 0xbf5db3d7, v29
	v_fmac_f32_e32 v30, 0x3f5db3d7, v32
	v_mul_f32_e32 v86, -0.5, v31
	v_add_f32_e32 v29, v37, v35
	v_fmac_f32_e32 v85, 0x3f5db3d7, v38
	v_dual_mul_f32 v84, 0xbf5db3d7, v31 :: v_dual_fmac_f32 v39, 0.5, v38
	s_delay_alu instid0(VALU_DEP_4) | instskip(NEXT) | instid1(VALU_DEP_2)
	v_dual_fmac_f32 v86, 0x3f5db3d7, v30 :: v_dual_sub_f32 v35, v37, v35
	v_dual_add_f32 v31, v83, v85 :: v_dual_fmac_f32 v84, -0.5, v30
	v_dual_add_f32 v28, v81, v34 :: v_dual_sub_f32 v37, v83, v85
	s_delay_alu instid0(VALU_DEP_3) | instskip(NEXT) | instid1(VALU_DEP_3)
	v_dual_add_f32 v30, v36, v39 :: v_dual_add_f32 v33, v82, v86
	v_add_f32_e32 v32, v80, v84
	v_sub_f32_e32 v34, v81, v34
	v_dual_sub_f32 v36, v36, v39 :: v_dual_sub_f32 v39, v82, v86
	v_sub_f32_e32 v38, v80, v84
	s_barrier_wait -1
	global_inv scope:SCOPE_SE
	ds_store_b128 v78, v[28:31]
	ds_store_b128 v78, v[32:35] offset:16
	ds_store_b128 v78, v[36:39] offset:32
	s_and_saveexec_b32 s0, vcc_lo
	s_cbranch_execz .LBB0_13
; %bb.12:
	v_dual_add_f32 v28, v25, v11 :: v_dual_sub_f32 v31, v24, v10
	v_dual_add_f32 v29, v9, v23 :: v_dual_add_f32 v30, v24, v10
	v_dual_sub_f32 v32, v22, v8 :: v_dual_sub_f32 v33, v25, v11
	s_delay_alu instid0(VALU_DEP_3) | instskip(NEXT) | instid1(VALU_DEP_3)
	v_fma_f32 v28, -0.5, v28, v21
	v_fma_f32 v36, -0.5, v29, v68
	s_delay_alu instid0(VALU_DEP_4) | instskip(SKIP_1) | instid1(VALU_DEP_4)
	v_fma_f32 v34, -0.5, v30, v20
	v_dual_add_f32 v30, v23, v68 :: v_dual_add_f32 v29, v8, v22
	v_fmamk_f32 v35, v31, 0xbf5db3d7, v28
	v_fmac_f32_e32 v28, 0x3f5db3d7, v31
	s_delay_alu instid0(VALU_DEP_4)
	v_fmamk_f32 v37, v33, 0x3f5db3d7, v34
	v_fmamk_f32 v39, v32, 0xbf5db3d7, v36
	v_add_f32_e32 v21, v21, v25
	v_dual_add_f32 v25, v9, v30 :: v_dual_add_f32 v20, v20, v24
	v_mul_f32_e32 v38, 0.5, v28
	v_dual_fmac_f32 v34, 0xbf5db3d7, v33 :: v_dual_mul_f32 v33, -0.5, v35
	v_fmac_f32_e32 v36, 0x3f5db3d7, v32
	v_fma_f32 v32, -0.5, v29, v67
	v_dual_mul_f32 v35, 0xbf5db3d7, v35 :: v_dual_add_f32 v20, v20, v10
	s_delay_alu instid0(VALU_DEP_4) | instskip(SKIP_3) | instid1(VALU_DEP_4)
	v_dual_fmac_f32 v38, 0x3f5db3d7, v34 :: v_dual_fmac_f32 v33, 0x3f5db3d7, v37
	v_dual_mul_f32 v28, 0xbf5db3d7, v28 :: v_dual_add_f32 v21, v21, v11
	v_add_f32_e32 v11, v22, v67
	v_sub_f32_e32 v9, v23, v9
	v_add_f32_e32 v23, v36, v38
	s_delay_alu instid0(VALU_DEP_4) | instskip(NEXT) | instid1(VALU_DEP_4)
	v_fmac_f32_e32 v28, 0.5, v34
	v_dual_add_f32 v8, v8, v11 :: v_dual_sub_f32 v31, v39, v33
	s_delay_alu instid0(VALU_DEP_4) | instskip(SKIP_1) | instid1(VALU_DEP_3)
	v_dual_fmamk_f32 v24, v9, 0x3f5db3d7, v32 :: v_dual_sub_f32 v29, v36, v38
	v_fmac_f32_e32 v32, 0xbf5db3d7, v9
	v_dual_fmac_f32 v35, -0.5, v37 :: v_dual_sub_f32 v10, v8, v20
	v_dual_add_f32 v9, v39, v33 :: v_dual_add_f32 v20, v20, v8
	s_delay_alu instid0(VALU_DEP_3) | instskip(NEXT) | instid1(VALU_DEP_3)
	v_dual_add_f32 v22, v32, v28 :: v_dual_sub_f32 v11, v25, v21
	v_dual_sub_f32 v30, v24, v35 :: v_dual_add_f32 v21, v21, v25
	v_add_f32_e32 v8, v24, v35
	v_lshl_add_u32 v25, v77, 3, v75
	v_sub_f32_e32 v28, v32, v28
	ds_store_b128 v25, v[20:23]
	ds_store_b128 v25, v[8:11] offset:16
	ds_store_b128 v25, v[28:31] offset:32
.LBB0_13:
	s_wait_alu 0xfffe
	s_or_b32 exec_lo, exec_lo, s0
	global_wb scope:SCOPE_SE
	s_wait_dscnt 0x0
	s_barrier_signal -1
	s_barrier_wait -1
	global_inv scope:SCOPE_SE
	ds_load_2addr_b64 v[8:11], v72 offset1:12
	ds_load_2addr_b64 v[20:23], v72 offset0:24 offset1:36
	ds_load_2addr_b64 v[28:31], v72 offset0:48 offset1:60
	ds_load_2addr_b64 v[32:35], v72 offset0:72 offset1:84
	ds_load_2addr_b64 v[36:39], v72 offset0:96 offset1:108
	global_wb scope:SCOPE_SE
	s_wait_dscnt 0x0
	s_barrier_signal -1
	s_barrier_wait -1
	global_inv scope:SCOPE_SE
	s_mov_b32 s2, 0x11111111
	s_mov_b32 s3, 0x3f811111
	v_dual_mul_f32 v24, v17, v11 :: v_dual_mul_f32 v25, v19, v21
	v_dual_mul_f32 v17, v17, v10 :: v_dual_mul_f32 v68, v15, v29
	v_mul_f32_e32 v67, v13, v23
	v_mul_f32_e32 v13, v13, v22
	;; [unrolled: 1-line block ×3, first 2 shown]
	v_dual_mul_f32 v19, v19, v20 :: v_dual_fmac_f32 v24, v16, v10
	v_fma_f32 v10, v16, v11, -v17
	v_dual_fmac_f32 v68, v14, v28 :: v_dual_fmac_f32 v67, v12, v22
	v_fma_f32 v12, v12, v23, -v13
	v_mul_f32_e32 v16, v56, v39
	v_fma_f32 v13, v14, v29, -v15
	v_dual_mul_f32 v14, v7, v33 :: v_dual_mul_f32 v75, v5, v31
	v_mul_f32_e32 v5, v5, v30
	v_fma_f32 v11, v18, v21, -v19
	v_dual_fmac_f32 v25, v18, v20 :: v_dual_fmac_f32 v16, v55, v38
	s_delay_alu instid0(VALU_DEP_4) | instskip(NEXT) | instid1(VALU_DEP_3)
	v_dual_fmac_f32 v14, v6, v32 :: v_dual_fmac_f32 v75, v4, v30
	v_add_f32_e32 v28, v9, v11
	v_fma_f32 v4, v4, v31, -v5
	v_dual_mul_f32 v5, v3, v36 :: v_dual_mul_f32 v22, v56, v38
	v_mul_f32_e32 v3, v3, v37
	v_mul_f32_e32 v7, v7, v32
	v_sub_f32_e32 v19, v25, v68
	s_delay_alu instid0(VALU_DEP_4) | instskip(NEXT) | instid1(VALU_DEP_4)
	v_fma_f32 v5, v2, v37, -v5
	v_fmac_f32_e32 v3, v2, v36
	v_mul_f32_e32 v15, v1, v35
	v_fma_f32 v6, v6, v33, -v7
	v_mul_f32_e32 v1, v1, v34
	s_delay_alu instid0(VALU_DEP_4) | instskip(NEXT) | instid1(VALU_DEP_3)
	v_dual_sub_f32 v20, v3, v14 :: v_dual_add_f32 v21, v25, v3
	v_dual_sub_f32 v2, v13, v6 :: v_dual_sub_f32 v23, v14, v3
	s_delay_alu instid0(VALU_DEP_2) | instskip(SKIP_1) | instid1(VALU_DEP_4)
	v_add_f32_e32 v19, v19, v20
	v_add_f32_e32 v7, v68, v14
	v_fma_f32 v20, -0.5, v21, v8
	v_add_f32_e32 v17, v8, v25
	s_delay_alu instid0(VALU_DEP_3)
	v_fma_f32 v18, -0.5, v7, v8
	v_sub_f32_e32 v7, v11, v5
	v_fma_f32 v8, v55, v39, -v22
	v_dual_fmamk_f32 v22, v2, 0x3f737871, v20 :: v_dual_fmac_f32 v15, v0, v34
	v_fma_f32 v0, v0, v35, -v1
	v_dual_fmac_f32 v20, 0xbf737871, v2 :: v_dual_add_f32 v1, v17, v68
	v_fmamk_f32 v17, v7, 0xbf737871, v18
	v_dual_fmac_f32 v18, 0x3f737871, v7 :: v_dual_add_f32 v29, v13, v6
	s_delay_alu instid0(VALU_DEP_2) | instskip(NEXT) | instid1(VALU_DEP_2)
	v_fmac_f32_e32 v17, 0xbf167918, v2
	v_fmac_f32_e32 v18, 0x3f167918, v2
	v_add_f32_e32 v2, v28, v13
	v_sub_f32_e32 v28, v5, v6
	s_delay_alu instid0(VALU_DEP_3) | instskip(NEXT) | instid1(VALU_DEP_3)
	v_fmac_f32_e32 v18, 0x3e9e377a, v19
	v_add_f32_e32 v2, v2, v6
	v_dual_fmac_f32 v20, 0x3f167918, v7 :: v_dual_add_f32 v1, v1, v14
	v_dual_fmac_f32 v22, 0xbf167918, v7 :: v_dual_add_f32 v7, v11, v5
	s_delay_alu instid0(VALU_DEP_3)
	v_add_f32_e32 v30, v2, v5
	v_dual_sub_f32 v2, v13, v11 :: v_dual_sub_f32 v5, v6, v5
	v_add_f32_e32 v6, v24, v67
	v_add_f32_e32 v21, v1, v3
	v_sub_f32_e32 v1, v68, v25
	v_sub_f32_e32 v14, v68, v14
	v_add_f32_e32 v2, v2, v5
	v_add_f32_e32 v5, v6, v75
	;; [unrolled: 1-line block ×4, first 2 shown]
	v_fma_f32 v23, -0.5, v29, v9
	v_fma_f32 v29, -0.5, v7, v9
	v_fmac_f32_e32 v17, 0x3e9e377a, v19
	s_delay_alu instid0(VALU_DEP_4) | instskip(SKIP_2) | instid1(VALU_DEP_1)
	v_dual_sub_f32 v7, v16, v15 :: v_dual_fmac_f32 v22, 0x3e9e377a, v1
	v_sub_f32_e32 v3, v25, v3
	v_sub_f32_e32 v25, v11, v13
	v_dual_fmac_f32 v20, 0x3e9e377a, v1 :: v_dual_add_f32 v1, v25, v28
	v_fmamk_f32 v25, v14, 0xbf737871, v29
	v_dual_fmac_f32 v29, 0x3f737871, v14 :: v_dual_sub_f32 v28, v0, v8
	s_delay_alu instid0(VALU_DEP_2) | instskip(NEXT) | instid1(VALU_DEP_2)
	v_fmac_f32_e32 v25, 0x3f167918, v3
	v_fmac_f32_e32 v29, 0xbf167918, v3
	s_delay_alu instid0(VALU_DEP_2) | instskip(NEXT) | instid1(VALU_DEP_2)
	v_fmac_f32_e32 v25, 0x3e9e377a, v2
	v_dual_fmac_f32 v29, 0x3e9e377a, v2 :: v_dual_sub_f32 v2, v67, v75
	v_fmamk_f32 v19, v3, 0x3f737871, v23
	v_fmac_f32_e32 v23, 0xbf737871, v3
	v_fma_f32 v3, -0.5, v6, v24
	v_dual_sub_f32 v6, v12, v8 :: v_dual_sub_f32 v13, v75, v67
	s_delay_alu instid0(VALU_DEP_4) | instskip(NEXT) | instid1(VALU_DEP_4)
	v_dual_add_f32 v2, v2, v7 :: v_dual_fmac_f32 v19, 0x3f167918, v14
	v_dual_fmac_f32 v23, 0xbf167918, v14 :: v_dual_sub_f32 v14, v15, v16
	s_delay_alu instid0(VALU_DEP_1) | instskip(NEXT) | instid1(VALU_DEP_3)
	v_dual_add_f32 v7, v13, v14 :: v_dual_sub_f32 v14, v75, v15
	v_fmac_f32_e32 v19, 0x3e9e377a, v1
	s_delay_alu instid0(VALU_DEP_3) | instskip(SKIP_4) | instid1(VALU_DEP_4)
	v_fmac_f32_e32 v23, 0x3e9e377a, v1
	v_add_f32_e32 v1, v5, v15
	v_add_f32_e32 v5, v67, v16
	;; [unrolled: 1-line block ×3, first 2 shown]
	v_sub_f32_e32 v15, v8, v0
	v_add_f32_e32 v11, v1, v16
	s_delay_alu instid0(VALU_DEP_4) | instskip(SKIP_2) | instid1(VALU_DEP_3)
	v_dual_sub_f32 v1, v4, v0 :: v_dual_fmac_f32 v24, -0.5, v5
	v_fmamk_f32 v5, v6, 0xbf737871, v3
	v_fmac_f32_e32 v3, 0x3f737871, v6
	v_fmamk_f32 v9, v1, 0x3f737871, v24
	s_delay_alu instid0(VALU_DEP_3) | instskip(NEXT) | instid1(VALU_DEP_3)
	v_fmac_f32_e32 v5, 0xbf167918, v1
	v_fmac_f32_e32 v3, 0x3f167918, v1
	v_dual_fmac_f32 v24, 0xbf737871, v1 :: v_dual_add_f32 v1, v4, v0
	s_delay_alu instid0(VALU_DEP_4) | instskip(NEXT) | instid1(VALU_DEP_4)
	v_fmac_f32_e32 v9, 0xbf167918, v6
	v_fmac_f32_e32 v5, 0x3e9e377a, v2
	s_delay_alu instid0(VALU_DEP_4) | instskip(NEXT) | instid1(VALU_DEP_4)
	v_dual_fmac_f32 v3, 0x3e9e377a, v2 :: v_dual_add_f32 v2, v12, v8
	v_fma_f32 v1, -0.5, v1, v10
	v_fmac_f32_e32 v24, 0x3f167918, v6
	v_dual_sub_f32 v6, v67, v16 :: v_dual_fmac_f32 v9, 0x3e9e377a, v7
	s_delay_alu instid0(VALU_DEP_4) | instskip(SKIP_3) | instid1(VALU_DEP_4)
	v_fmac_f32_e32 v10, -0.5, v2
	v_sub_f32_e32 v2, v12, v4
	v_sub_f32_e32 v12, v4, v12
	v_fmac_f32_e32 v24, 0x3e9e377a, v7
	v_fmamk_f32 v16, v14, 0xbf737871, v10
	v_fmac_f32_e32 v10, 0x3f737871, v14
	s_delay_alu instid0(VALU_DEP_4) | instskip(SKIP_1) | instid1(VALU_DEP_4)
	v_add_f32_e32 v12, v12, v28
	v_add_f32_e32 v2, v2, v15
	v_fmac_f32_e32 v16, 0x3f167918, v6
	s_delay_alu instid0(VALU_DEP_4) | instskip(NEXT) | instid1(VALU_DEP_2)
	v_fmac_f32_e32 v10, 0xbf167918, v6
	v_fmac_f32_e32 v16, 0x3e9e377a, v12
	s_delay_alu instid0(VALU_DEP_2) | instskip(NEXT) | instid1(VALU_DEP_2)
	v_fmac_f32_e32 v10, 0x3e9e377a, v12
	v_mul_f32_e32 v33, 0x3e9e377a, v16
	s_delay_alu instid0(VALU_DEP_2) | instskip(SKIP_3) | instid1(VALU_DEP_4)
	v_mul_f32_e32 v15, 0xbf737871, v10
	v_mul_f32_e32 v34, 0xbe9e377a, v10
	v_fmamk_f32 v7, v6, 0x3f737871, v1
	v_dual_fmac_f32 v1, 0xbf737871, v6 :: v_dual_add_f32 v4, v13, v4
	v_fmac_f32_e32 v15, 0xbe9e377a, v24
	s_delay_alu instid0(VALU_DEP_4) | instskip(NEXT) | instid1(VALU_DEP_4)
	v_fmac_f32_e32 v34, 0x3f737871, v24
	v_fmac_f32_e32 v7, 0x3f167918, v14
	v_mul_f32_e32 v13, 0xbf737871, v16
	s_delay_alu instid0(VALU_DEP_4) | instskip(NEXT) | instid1(VALU_DEP_3)
	v_dual_fmac_f32 v1, 0xbf167918, v14 :: v_dual_sub_f32 v16, v20, v15
	v_dual_add_f32 v0, v4, v0 :: v_dual_fmac_f32 v7, 0x3e9e377a, v2
	s_delay_alu instid0(VALU_DEP_3) | instskip(NEXT) | instid1(VALU_DEP_3)
	v_fmac_f32_e32 v13, 0x3e9e377a, v9
	v_fmac_f32_e32 v1, 0x3e9e377a, v2
	s_delay_alu instid0(VALU_DEP_3) | instskip(NEXT) | instid1(VALU_DEP_4)
	v_dual_fmac_f32 v33, 0x3f737871, v9 :: v_dual_add_f32 v28, v0, v8
	v_mul_f32_e32 v12, 0xbf167918, v7
	v_mul_f32_e32 v32, 0x3f4f1bbd, v7
	s_delay_alu instid0(VALU_DEP_4)
	v_mul_f32_e32 v31, 0xbf167918, v1
	v_mul_f32_e32 v35, 0xbf4f1bbd, v1
	v_sub_f32_e32 v14, v22, v13
	v_fmac_f32_e32 v12, 0x3f4f1bbd, v5
	v_add_f32_e32 v0, v21, v11
	v_fmac_f32_e32 v31, 0xbf4f1bbd, v3
	v_fmac_f32_e32 v35, 0x3f167918, v3
	v_add_f32_e32 v1, v30, v28
	v_add_f32_e32 v2, v17, v12
	v_sub_f32_e32 v12, v17, v12
	v_fmac_f32_e32 v32, 0x3f167918, v5
	v_add_f32_e32 v4, v22, v13
	v_dual_add_f32 v6, v20, v15 :: v_dual_add_f32 v5, v25, v33
	v_add_f32_e32 v7, v29, v34
	s_delay_alu instid0(VALU_DEP_4)
	v_dual_add_f32 v3, v19, v32 :: v_dual_add_f32 v8, v18, v31
	v_add_f32_e32 v9, v23, v35
	v_dual_sub_f32 v10, v21, v11 :: v_dual_sub_f32 v11, v30, v28
	v_sub_f32_e32 v13, v19, v32
	v_dual_sub_f32 v15, v25, v33 :: v_dual_sub_f32 v18, v18, v31
	v_sub_f32_e32 v17, v29, v34
	v_sub_f32_e32 v19, v23, v35
	ds_store_2addr_b64 v76, v[0:1], v[2:3] offset1:6
	ds_store_2addr_b64 v76, v[4:5], v[6:7] offset0:12 offset1:18
	ds_store_2addr_b64 v76, v[8:9], v[10:11] offset0:24 offset1:30
	;; [unrolled: 1-line block ×4, first 2 shown]
	global_wb scope:SCOPE_SE
	s_wait_dscnt 0x0
	s_barrier_signal -1
	s_barrier_wait -1
	global_inv scope:SCOPE_SE
	ds_load_2addr_b64 v[0:3], v72 offset0:48 offset1:60
	ds_load_2addr_b64 v[4:7], v72 offset0:72 offset1:84
	ds_load_2addr_b64 v[8:11], v72 offset0:96 offset1:108
	ds_load_2addr_b64 v[12:15], v72 offset1:12
	ds_load_2addr_b64 v[16:19], v72 offset0:24 offset1:36
	s_wait_dscnt 0x4
	v_mul_f32_e32 v20, v66, v3
	s_wait_dscnt 0x3
	v_dual_mul_f32 v21, v66, v2 :: v_dual_mul_f32 v22, v64, v5
	v_dual_mul_f32 v23, v64, v4 :: v_dual_mul_f32 v24, v62, v7
	s_delay_alu instid0(VALU_DEP_3) | instskip(NEXT) | instid1(VALU_DEP_3)
	v_fmac_f32_e32 v20, v65, v2
	v_fma_f32 v3, v65, v3, -v21
	s_delay_alu instid0(VALU_DEP_4) | instskip(NEXT) | instid1(VALU_DEP_4)
	v_fmac_f32_e32 v22, v63, v4
	v_fma_f32 v5, v63, v5, -v23
	s_wait_dscnt 0x2
	v_dual_mul_f32 v2, v62, v6 :: v_dual_mul_f32 v21, v60, v9
	v_mul_f32_e32 v4, v60, v8
	v_dual_fmac_f32 v24, v61, v6 :: v_dual_mul_f32 v23, v58, v11
	v_mul_f32_e32 v6, v58, v10
	s_delay_alu instid0(VALU_DEP_4)
	v_fma_f32 v25, v61, v7, -v2
	v_fmac_f32_e32 v21, v59, v8
	v_fma_f32 v28, v59, v9, -v4
	s_wait_dscnt 0x1
	v_dual_sub_f32 v4, v14, v22 :: v_dual_sub_f32 v5, v15, v5
	v_fmac_f32_e32 v23, v57, v10
	v_fma_f32 v29, v57, v11, -v6
	v_dual_sub_f32 v2, v12, v20 :: v_dual_sub_f32 v3, v13, v3
	s_wait_dscnt 0x0
	v_sub_f32_e32 v8, v16, v24
	v_fma_f32 v10, v14, 2.0, -v4
	v_fma_f32 v11, v15, 2.0, -v5
	v_sub_f32_e32 v9, v17, v25
	v_dual_sub_f32 v14, v18, v21 :: v_dual_sub_f32 v15, v19, v28
	v_dual_sub_f32 v20, v0, v23 :: v_dual_sub_f32 v21, v1, v29
	v_fma_f32 v6, v12, 2.0, -v2
	v_fma_f32 v7, v13, 2.0, -v3
	;; [unrolled: 1-line block ×8, first 2 shown]
	ds_store_2addr_b64 v72, v[6:7], v[10:11] offset1:12
	ds_store_2addr_b64 v72, v[2:3], v[4:5] offset0:60 offset1:72
	ds_store_2addr_b64 v72, v[12:13], v[16:17] offset0:24 offset1:36
	ds_store_b64 v27, v[8:9] offset:480
	ds_store_b64 v26, v[14:15] offset:480
	ds_store_2addr_b64 v79, v[0:1], v[20:21] offset1:60
	global_wb scope:SCOPE_SE
	s_wait_dscnt 0x0
	s_barrier_signal -1
	s_barrier_wait -1
	global_inv scope:SCOPE_SE
	ds_load_2addr_b64 v[0:3], v72 offset1:20
	ds_load_2addr_b64 v[4:7], v72 offset0:40 offset1:60
	ds_load_2addr_b64 v[8:11], v72 offset0:80 offset1:100
	v_mad_co_u64_u32 v[24:25], null, s6, v40, 0
	v_mad_co_u64_u32 v[28:29], null, s4, v73, 0
	s_wait_dscnt 0x2
	v_mul_f32_e32 v12, v52, v1
	s_wait_dscnt 0x1
	v_mul_f32_e32 v18, v54, v7
	;; [unrolled: 2-line block ×3, first 2 shown]
	v_dual_mul_f32 v13, v52, v0 :: v_dual_mul_f32 v14, v50, v3
	v_mul_f32_e32 v15, v50, v2
	v_fmac_f32_e32 v18, v53, v6
	v_mul_f32_e32 v6, v54, v6
	v_mul_f32_e32 v20, v44, v9
	;; [unrolled: 1-line block ×3, first 2 shown]
	v_fmac_f32_e32 v12, v51, v0
	v_fma_f32 v13, v51, v1, -v13
	v_fmac_f32_e32 v14, v49, v2
	v_fma_f32 v15, v49, v3, -v15
	v_fma_f32 v6, v53, v7, -v6
	v_dual_fmac_f32 v20, v43, v8 :: v_dual_mul_f32 v23, v48, v10
	v_fma_f32 v21, v43, v9, -v21
	v_fmac_f32_e32 v22, v47, v10
	v_cvt_f64_f32_e32 v[0:1], v12
	v_cvt_f64_f32_e32 v[12:13], v13
	;; [unrolled: 1-line block ×6, first 2 shown]
	v_fma_f32 v23, v47, v11, -v23
	v_cvt_f64_f32_e32 v[10:11], v21
	v_cvt_f64_f32_e32 v[20:21], v22
	v_mul_f32_e32 v16, v46, v5
	v_mul_f32_e32 v17, v46, v4
	v_cvt_f64_f32_e32 v[18:19], v18
	v_cvt_f64_f32_e32 v[22:23], v23
	s_delay_alu instid0(VALU_DEP_4) | instskip(NEXT) | instid1(VALU_DEP_4)
	v_fmac_f32_e32 v16, v45, v4
	v_fma_f32 v17, v45, v5, -v17
	s_delay_alu instid0(VALU_DEP_2) | instskip(NEXT) | instid1(VALU_DEP_2)
	v_cvt_f64_f32_e32 v[4:5], v16
	v_cvt_f64_f32_e32 v[16:17], v17
	s_wait_alu 0xfffe
	v_mul_f64_e32 v[0:1], s[2:3], v[0:1]
	v_mul_f64_e32 v[12:13], s[2:3], v[12:13]
	;; [unrolled: 1-line block ×6, first 2 shown]
	v_mov_b32_e32 v2, v25
	v_mul_f64_e32 v[10:11], s[2:3], v[10:11]
	v_mul_f64_e32 v[20:21], s[2:3], v[20:21]
	s_delay_alu instid0(VALU_DEP_3)
	v_mad_co_u64_u32 v[2:3], null, s7, v40, v[2:3]
	v_mul_f64_e32 v[18:19], s[2:3], v[18:19]
	v_mul_f64_e32 v[22:23], s[2:3], v[22:23]
	v_mov_b32_e32 v3, v29
	s_mul_u64 s[6:7], s[4:5], 0xa0
	v_mul_f64_e32 v[4:5], s[2:3], v[4:5]
	v_mul_f64_e32 v[16:17], s[2:3], v[16:17]
	v_mov_b32_e32 v25, v2
	v_cvt_f32_f64_e32 v0, v[0:1]
	v_cvt_f32_f64_e32 v1, v[12:13]
	s_delay_alu instid0(VALU_DEP_3)
	v_lshlrev_b64_e32 v[12:13], 3, v[24:25]
	v_cvt_f32_f64_e32 v25, v[14:15]
	v_cvt_f32_f64_e32 v15, v[6:7]
	;; [unrolled: 1-line block ×4, first 2 shown]
	v_mad_co_u64_u32 v[26:27], null, s4, v74, 0
	v_cvt_f32_f64_e32 v9, v[20:21]
	v_cvt_f32_f64_e32 v7, v[10:11]
	;; [unrolled: 1-line block ×4, first 2 shown]
	v_mov_b32_e32 v8, v27
	v_mad_co_u64_u32 v[2:3], null, s5, v73, v[3:4]
	v_cvt_f32_f64_e32 v4, v[4:5]
	v_cvt_f32_f64_e32 v5, v[16:17]
	s_delay_alu instid0(VALU_DEP_3) | instskip(SKIP_3) | instid1(VALU_DEP_3)
	v_mov_b32_e32 v29, v2
	v_add_co_u32 v2, s0, s10, v12
	s_wait_alu 0xf1ff
	v_add_co_ci_u32_e64 v3, s0, s11, v13, s0
	v_lshlrev_b64_e32 v[12:13], 3, v[28:29]
	s_delay_alu instid0(VALU_DEP_1) | instskip(SKIP_1) | instid1(VALU_DEP_2)
	v_add_co_u32 v11, s0, v2, v12
	s_wait_alu 0xf1ff
	v_add_co_ci_u32_e64 v12, s0, v3, v13, s0
	global_store_b64 v[11:12], v[0:1], off
	s_wait_alu 0xfffe
	v_add_co_u32 v11, s0, v11, s6
	v_mad_co_u64_u32 v[16:17], null, s5, v74, v[8:9]
	s_wait_alu 0xf1ff
	v_add_co_ci_u32_e64 v12, s0, s7, v12, s0
	s_delay_alu instid0(VALU_DEP_2) | instskip(SKIP_2) | instid1(VALU_DEP_3)
	v_mov_b32_e32 v27, v16
	v_add_co_u32 v16, s0, v11, s6
	s_wait_alu 0xf1ff
	v_add_co_ci_u32_e64 v17, s0, s7, v12, s0
	s_delay_alu instid0(VALU_DEP_3) | instskip(NEXT) | instid1(VALU_DEP_3)
	v_lshlrev_b64_e32 v[0:1], 3, v[26:27]
	v_add_co_u32 v18, s0, v16, s6
	s_wait_alu 0xf1ff
	s_delay_alu instid0(VALU_DEP_3) | instskip(SKIP_1) | instid1(VALU_DEP_3)
	v_add_co_ci_u32_e64 v19, s0, s7, v17, s0
	s_mul_u64 s[6:7], s[4:5], 40
	v_add_co_u32 v20, s0, v2, v0
	s_wait_alu 0xfffe
	s_lshl_b64 s[6:7], s[6:7], 3
	v_add_co_ci_u32_e64 v21, s0, v3, v1, s0
	s_wait_alu 0xfffe
	v_add_co_u32 v0, s0, v18, s6
	s_wait_alu 0xf1ff
	v_add_co_ci_u32_e64 v1, s0, s7, v19, s0
	s_clause 0x4
	global_store_b64 v[11:12], v[24:25], off
	global_store_b64 v[16:17], v[4:5], off
	;; [unrolled: 1-line block ×5, first 2 shown]
	s_and_b32 exec_lo, exec_lo, vcc_lo
	s_cbranch_execz .LBB0_15
; %bb.14:
	s_clause 0x5
	global_load_b64 v[16:17], v[41:42], off offset:96
	global_load_b64 v[18:19], v[41:42], off offset:256
	;; [unrolled: 1-line block ×6, first 2 shown]
	ds_load_2addr_b64 v[4:7], v72 offset0:12 offset1:32
	ds_load_2addr_b64 v[8:11], v72 offset0:52 offset1:72
	;; [unrolled: 1-line block ×3, first 2 shown]
	v_mad_co_u64_u32 v[0:1], null, 0xfffffd40, s4, v[0:1]
	s_mul_i32 s0, s5, 0xfffffd40
	s_wait_alu 0xfffe
	s_sub_co_i32 s0, s0, s4
	s_wait_alu 0xfffe
	s_delay_alu instid0(VALU_DEP_1)
	v_add_nc_u32_e32 v1, s0, v1
	s_wait_loadcnt_dscnt 0x402
	v_dual_mul_f32 v28, v5, v17 :: v_dual_mul_f32 v29, v7, v19
	v_mul_f32_e32 v17, v4, v17
	s_wait_loadcnt_dscnt 0x301
	v_dual_mul_f32 v19, v6, v19 :: v_dual_mul_f32 v30, v9, v21
	v_mul_f32_e32 v21, v8, v21
	s_wait_loadcnt_dscnt 0x100
	v_dual_mul_f32 v31, v11, v23 :: v_dual_mul_f32 v32, v13, v25
	v_dual_mul_f32 v23, v10, v23 :: v_dual_fmac_f32 v28, v4, v16
	v_mul_f32_e32 v25, v12, v25
	s_wait_loadcnt 0x0
	v_dual_mul_f32 v33, v15, v27 :: v_dual_fmac_f32 v30, v8, v20
	v_dual_mul_f32 v27, v14, v27 :: v_dual_fmac_f32 v32, v12, v24
	v_fma_f32 v16, v16, v5, -v17
	v_fmac_f32_e32 v29, v6, v18
	v_fma_f32 v17, v18, v7, -v19
	v_fma_f32 v18, v20, v9, -v21
	v_fmac_f32_e32 v31, v10, v22
	v_fma_f32 v19, v22, v11, -v23
	;; [unrolled: 3-line block ×3, first 2 shown]
	v_cvt_f64_f32_e32 v[4:5], v28
	v_cvt_f64_f32_e32 v[6:7], v16
	;; [unrolled: 1-line block ×12, first 2 shown]
	v_mad_co_u64_u32 v[28:29], null, s4, v69, 0
	v_mad_co_u64_u32 v[30:31], null, s4, v70, 0
	;; [unrolled: 1-line block ×3, first 2 shown]
	s_delay_alu instid0(VALU_DEP_2) | instskip(NEXT) | instid1(VALU_DEP_1)
	v_mad_co_u64_u32 v[34:35], null, s5, v69, v[29:30]
	v_mov_b32_e32 v29, v34
	v_mul_f64_e32 v[4:5], s[2:3], v[4:5]
	v_mul_f64_e32 v[6:7], s[2:3], v[6:7]
	;; [unrolled: 1-line block ×12, first 2 shown]
	v_cvt_f32_f64_e32 v4, v[4:5]
	v_cvt_f32_f64_e32 v5, v[6:7]
	;; [unrolled: 1-line block ×12, first 2 shown]
	v_mad_co_u64_u32 v[16:17], null, s5, v70, v[31:32]
	v_mad_co_u64_u32 v[17:18], null, s5, v71, v[33:34]
	v_add_co_u32 v18, vcc_lo, v0, s6
	s_wait_alu 0xfffd
	v_add_co_ci_u32_e32 v19, vcc_lo, s7, v1, vcc_lo
	s_delay_alu instid0(VALU_DEP_4) | instskip(NEXT) | instid1(VALU_DEP_3)
	v_mov_b32_e32 v31, v16
	v_add_co_u32 v20, vcc_lo, v18, s6
	v_mov_b32_e32 v33, v17
	v_lshlrev_b64_e32 v[16:17], 3, v[28:29]
	s_delay_alu instid0(VALU_DEP_4) | instskip(SKIP_3) | instid1(VALU_DEP_4)
	v_lshlrev_b64_e32 v[22:23], 3, v[30:31]
	s_wait_alu 0xfffd
	v_add_co_ci_u32_e32 v21, vcc_lo, s7, v19, vcc_lo
	v_lshlrev_b64_e32 v[24:25], 3, v[32:33]
	v_add_co_u32 v16, vcc_lo, v2, v16
	s_wait_alu 0xfffd
	v_add_co_ci_u32_e32 v17, vcc_lo, v3, v17, vcc_lo
	v_add_co_u32 v22, vcc_lo, v2, v22
	s_wait_alu 0xfffd
	v_add_co_ci_u32_e32 v23, vcc_lo, v3, v23, vcc_lo
	;; [unrolled: 3-line block ×3, first 2 shown]
	global_store_b64 v[0:1], v[4:5], off
	global_store_b64 v[16:17], v[6:7], off
	;; [unrolled: 1-line block ×6, first 2 shown]
.LBB0_15:
	s_nop 0
	s_sendmsg sendmsg(MSG_DEALLOC_VGPRS)
	s_endpgm
	.section	.rodata,"a",@progbits
	.p2align	6, 0x0
	.amdhsa_kernel bluestein_single_fwd_len120_dim1_sp_op_CI_CI
		.amdhsa_group_segment_fixed_size 4800
		.amdhsa_private_segment_fixed_size 0
		.amdhsa_kernarg_size 104
		.amdhsa_user_sgpr_count 2
		.amdhsa_user_sgpr_dispatch_ptr 0
		.amdhsa_user_sgpr_queue_ptr 0
		.amdhsa_user_sgpr_kernarg_segment_ptr 1
		.amdhsa_user_sgpr_dispatch_id 0
		.amdhsa_user_sgpr_private_segment_size 0
		.amdhsa_wavefront_size32 1
		.amdhsa_uses_dynamic_stack 0
		.amdhsa_enable_private_segment 0
		.amdhsa_system_sgpr_workgroup_id_x 1
		.amdhsa_system_sgpr_workgroup_id_y 0
		.amdhsa_system_sgpr_workgroup_id_z 0
		.amdhsa_system_sgpr_workgroup_info 0
		.amdhsa_system_vgpr_workitem_id 0
		.amdhsa_next_free_vgpr 104
		.amdhsa_next_free_sgpr 18
		.amdhsa_reserve_vcc 1
		.amdhsa_float_round_mode_32 0
		.amdhsa_float_round_mode_16_64 0
		.amdhsa_float_denorm_mode_32 3
		.amdhsa_float_denorm_mode_16_64 3
		.amdhsa_fp16_overflow 0
		.amdhsa_workgroup_processor_mode 1
		.amdhsa_memory_ordered 1
		.amdhsa_forward_progress 0
		.amdhsa_round_robin_scheduling 0
		.amdhsa_exception_fp_ieee_invalid_op 0
		.amdhsa_exception_fp_denorm_src 0
		.amdhsa_exception_fp_ieee_div_zero 0
		.amdhsa_exception_fp_ieee_overflow 0
		.amdhsa_exception_fp_ieee_underflow 0
		.amdhsa_exception_fp_ieee_inexact 0
		.amdhsa_exception_int_div_zero 0
	.end_amdhsa_kernel
	.text
.Lfunc_end0:
	.size	bluestein_single_fwd_len120_dim1_sp_op_CI_CI, .Lfunc_end0-bluestein_single_fwd_len120_dim1_sp_op_CI_CI
                                        ; -- End function
	.section	.AMDGPU.csdata,"",@progbits
; Kernel info:
; codeLenInByte = 8628
; NumSgprs: 20
; NumVgprs: 104
; ScratchSize: 0
; MemoryBound: 0
; FloatMode: 240
; IeeeMode: 1
; LDSByteSize: 4800 bytes/workgroup (compile time only)
; SGPRBlocks: 2
; VGPRBlocks: 12
; NumSGPRsForWavesPerEU: 20
; NumVGPRsForWavesPerEU: 104
; Occupancy: 12
; WaveLimiterHint : 1
; COMPUTE_PGM_RSRC2:SCRATCH_EN: 0
; COMPUTE_PGM_RSRC2:USER_SGPR: 2
; COMPUTE_PGM_RSRC2:TRAP_HANDLER: 0
; COMPUTE_PGM_RSRC2:TGID_X_EN: 1
; COMPUTE_PGM_RSRC2:TGID_Y_EN: 0
; COMPUTE_PGM_RSRC2:TGID_Z_EN: 0
; COMPUTE_PGM_RSRC2:TIDIG_COMP_CNT: 0
	.text
	.p2alignl 7, 3214868480
	.fill 96, 4, 3214868480
	.type	__hip_cuid_377134001c21b89a,@object ; @__hip_cuid_377134001c21b89a
	.section	.bss,"aw",@nobits
	.globl	__hip_cuid_377134001c21b89a
__hip_cuid_377134001c21b89a:
	.byte	0                               ; 0x0
	.size	__hip_cuid_377134001c21b89a, 1

	.ident	"AMD clang version 19.0.0git (https://github.com/RadeonOpenCompute/llvm-project roc-6.4.0 25133 c7fe45cf4b819c5991fe208aaa96edf142730f1d)"
	.section	".note.GNU-stack","",@progbits
	.addrsig
	.addrsig_sym __hip_cuid_377134001c21b89a
	.amdgpu_metadata
---
amdhsa.kernels:
  - .args:
      - .actual_access:  read_only
        .address_space:  global
        .offset:         0
        .size:           8
        .value_kind:     global_buffer
      - .actual_access:  read_only
        .address_space:  global
        .offset:         8
        .size:           8
        .value_kind:     global_buffer
      - .actual_access:  read_only
        .address_space:  global
        .offset:         16
        .size:           8
        .value_kind:     global_buffer
      - .actual_access:  read_only
        .address_space:  global
        .offset:         24
        .size:           8
        .value_kind:     global_buffer
      - .actual_access:  read_only
        .address_space:  global
        .offset:         32
        .size:           8
        .value_kind:     global_buffer
      - .offset:         40
        .size:           8
        .value_kind:     by_value
      - .address_space:  global
        .offset:         48
        .size:           8
        .value_kind:     global_buffer
      - .address_space:  global
        .offset:         56
        .size:           8
        .value_kind:     global_buffer
      - .address_space:  global
        .offset:         64
        .size:           8
        .value_kind:     global_buffer
      - .address_space:  global
        .offset:         72
        .size:           8
        .value_kind:     global_buffer
      - .offset:         80
        .size:           4
        .value_kind:     by_value
      - .address_space:  global
        .offset:         88
        .size:           8
        .value_kind:     global_buffer
      - .address_space:  global
        .offset:         96
        .size:           8
        .value_kind:     global_buffer
    .group_segment_fixed_size: 4800
    .kernarg_segment_align: 8
    .kernarg_segment_size: 104
    .language:       OpenCL C
    .language_version:
      - 2
      - 0
    .max_flat_workgroup_size: 60
    .name:           bluestein_single_fwd_len120_dim1_sp_op_CI_CI
    .private_segment_fixed_size: 0
    .sgpr_count:     20
    .sgpr_spill_count: 0
    .symbol:         bluestein_single_fwd_len120_dim1_sp_op_CI_CI.kd
    .uniform_work_group_size: 1
    .uses_dynamic_stack: false
    .vgpr_count:     104
    .vgpr_spill_count: 0
    .wavefront_size: 32
    .workgroup_processor_mode: 1
amdhsa.target:   amdgcn-amd-amdhsa--gfx1201
amdhsa.version:
  - 1
  - 2
...

	.end_amdgpu_metadata
